;; amdgpu-corpus repo=ROCm/rocFFT kind=compiled arch=gfx1201 opt=O3
	.text
	.amdgcn_target "amdgcn-amd-amdhsa--gfx1201"
	.amdhsa_code_object_version 6
	.protected	fft_rtc_back_len56_factors_7_8_wgs_128_tpt_8_dp_op_CI_CI_sbcr_C2R ; -- Begin function fft_rtc_back_len56_factors_7_8_wgs_128_tpt_8_dp_op_CI_CI_sbcr_C2R
	.globl	fft_rtc_back_len56_factors_7_8_wgs_128_tpt_8_dp_op_CI_CI_sbcr_C2R
	.p2align	8
	.type	fft_rtc_back_len56_factors_7_8_wgs_128_tpt_8_dp_op_CI_CI_sbcr_C2R,@function
fft_rtc_back_len56_factors_7_8_wgs_128_tpt_8_dp_op_CI_CI_sbcr_C2R: ; @fft_rtc_back_len56_factors_7_8_wgs_128_tpt_8_dp_op_CI_CI_sbcr_C2R
; %bb.0:
	s_clause 0x1
	s_load_b128 s[16:19], s[0:1], 0x10
	s_load_b64 s[28:29], s[0:1], 0x20
	s_mov_b32 s30, ttmp9
	s_mov_b32 s31, 0
	s_mov_b64 s[22:23], 0
	s_wait_kmcnt 0x0
	s_load_b64 s[24:25], s[16:17], 0x8
	s_wait_kmcnt 0x0
	s_add_nc_u64 s[2:3], s[24:25], -1
	s_delay_alu instid0(SALU_CYCLE_1) | instskip(NEXT) | instid1(SALU_CYCLE_1)
	s_lshr_b64 s[2:3], s[2:3], 4
	s_add_nc_u64 s[2:3], s[2:3], 1
	s_delay_alu instid0(SALU_CYCLE_1) | instskip(NEXT) | instid1(VALU_DEP_1)
	v_cmp_lt_u64_e64 s4, s[30:31], s[2:3]
	s_and_b32 vcc_lo, exec_lo, s4
	s_cbranch_vccnz .LBB0_2
; %bb.1:
	v_cvt_f32_u32_e32 v1, s2
	s_sub_co_i32 s5, 0, s2
	s_mov_b32 s23, s31
	s_delay_alu instid0(VALU_DEP_1) | instskip(NEXT) | instid1(TRANS32_DEP_1)
	v_rcp_iflag_f32_e32 v1, v1
	v_mul_f32_e32 v1, 0x4f7ffffe, v1
	s_delay_alu instid0(VALU_DEP_1) | instskip(NEXT) | instid1(VALU_DEP_1)
	v_cvt_u32_f32_e32 v1, v1
	v_readfirstlane_b32 s4, v1
	s_delay_alu instid0(VALU_DEP_1) | instskip(NEXT) | instid1(SALU_CYCLE_1)
	s_mul_i32 s5, s5, s4
	s_mul_hi_u32 s5, s4, s5
	s_delay_alu instid0(SALU_CYCLE_1) | instskip(NEXT) | instid1(SALU_CYCLE_1)
	s_add_co_i32 s4, s4, s5
	s_mul_hi_u32 s4, s30, s4
	s_delay_alu instid0(SALU_CYCLE_1) | instskip(SKIP_2) | instid1(SALU_CYCLE_1)
	s_mul_i32 s5, s4, s2
	s_add_co_i32 s6, s4, 1
	s_sub_co_i32 s5, s30, s5
	s_sub_co_i32 s7, s5, s2
	s_cmp_ge_u32 s5, s2
	s_cselect_b32 s4, s6, s4
	s_cselect_b32 s5, s7, s5
	s_add_co_i32 s6, s4, 1
	s_cmp_ge_u32 s5, s2
	s_cselect_b32 s22, s6, s4
.LBB0_2:
	s_load_b128 s[8:11], s[0:1], 0x0
	s_load_b128 s[12:15], s[18:19], 0x0
	;; [unrolled: 1-line block ×3, first 2 shown]
	s_mul_u64 s[20:21], s[22:23], s[2:3]
	s_delay_alu instid0(SALU_CYCLE_1) | instskip(NEXT) | instid1(SALU_CYCLE_1)
	s_sub_nc_u64 s[20:21], s[30:31], s[20:21]
	s_lshl_b64 s[26:27], s[20:21], 4
	s_wait_kmcnt 0x0
	v_cmp_lt_u64_e64 s33, s[10:11], 3
	s_mul_u64 s[34:35], s[14:15], s[26:27]
	s_mul_u64 s[20:21], s[6:7], s[26:27]
	s_delay_alu instid0(VALU_DEP_1)
	s_and_b32 vcc_lo, exec_lo, s33
	s_cbranch_vccnz .LBB0_12
; %bb.3:
	s_add_nc_u64 s[36:37], s[28:29], 16
	s_add_nc_u64 s[38:39], s[18:19], 16
	;; [unrolled: 1-line block ×3, first 2 shown]
	s_mov_b64 s[40:41], 2
	s_mov_b32 s42, 0
.LBB0_4:                                ; =>This Inner Loop Header: Depth=1
	s_load_b64 s[44:45], s[16:17], 0x0
                                        ; implicit-def: $sgpr48_sgpr49
	s_wait_kmcnt 0x0
	s_or_b64 s[46:47], s[22:23], s[44:45]
	s_delay_alu instid0(SALU_CYCLE_1)
	s_mov_b32 s43, s47
	s_mov_b32 s47, -1
	s_cmp_lg_u64 s[42:43], 0
	s_cbranch_scc0 .LBB0_6
; %bb.5:                                ;   in Loop: Header=BB0_4 Depth=1
	s_cvt_f32_u32 s33, s44
	s_cvt_f32_u32 s43, s45
	s_sub_nc_u64 s[50:51], 0, s[44:45]
	s_mov_b32 s47, 0
	s_mov_b32 s55, s42
	s_wait_alu 0xfffe
	s_fmamk_f32 s33, s43, 0x4f800000, s33
	s_wait_alu 0xfffe
	s_delay_alu instid0(SALU_CYCLE_2) | instskip(NEXT) | instid1(TRANS32_DEP_1)
	v_s_rcp_f32 s33, s33
	s_mul_f32 s33, s33, 0x5f7ffffc
	s_wait_alu 0xfffe
	s_delay_alu instid0(SALU_CYCLE_2) | instskip(NEXT) | instid1(SALU_CYCLE_3)
	s_mul_f32 s43, s33, 0x2f800000
	s_trunc_f32 s43, s43
	s_delay_alu instid0(SALU_CYCLE_3) | instskip(SKIP_2) | instid1(SALU_CYCLE_1)
	s_fmamk_f32 s33, s43, 0xcf800000, s33
	s_cvt_u32_f32 s49, s43
	s_wait_alu 0xfffe
	s_cvt_u32_f32 s48, s33
	s_wait_alu 0xfffe
	s_delay_alu instid0(SALU_CYCLE_2)
	s_mul_u64 s[52:53], s[50:51], s[48:49]
	s_wait_alu 0xfffe
	s_mul_hi_u32 s57, s48, s53
	s_mul_i32 s56, s48, s53
	s_mul_hi_u32 s46, s48, s52
	s_mul_i32 s43, s49, s52
	s_add_nc_u64 s[56:57], s[46:47], s[56:57]
	s_mul_hi_u32 s33, s49, s52
	s_mul_hi_u32 s58, s49, s53
	s_add_co_u32 s43, s56, s43
	s_wait_alu 0xfffe
	s_add_co_ci_u32 s54, s57, s33
	s_mul_i32 s52, s49, s53
	s_add_co_ci_u32 s53, s58, 0
	s_wait_alu 0xfffe
	s_add_nc_u64 s[52:53], s[54:55], s[52:53]
	s_wait_alu 0xfffe
	v_add_co_u32 v1, s33, s48, s52
	s_delay_alu instid0(VALU_DEP_1) | instskip(SKIP_1) | instid1(VALU_DEP_1)
	s_cmp_lg_u32 s33, 0
	s_add_co_ci_u32 s49, s49, s53
	v_readfirstlane_b32 s48, v1
	s_mov_b32 s53, s42
	s_wait_alu 0xfffe
	s_delay_alu instid0(VALU_DEP_1)
	s_mul_u64 s[50:51], s[50:51], s[48:49]
	s_wait_alu 0xfffe
	s_mul_hi_u32 s55, s48, s51
	s_mul_i32 s54, s48, s51
	s_mul_hi_u32 s46, s48, s50
	s_mul_i32 s43, s49, s50
	s_add_nc_u64 s[54:55], s[46:47], s[54:55]
	s_mul_hi_u32 s33, s49, s50
	s_mul_hi_u32 s48, s49, s51
	s_add_co_u32 s43, s54, s43
	s_wait_alu 0xfffe
	s_add_co_ci_u32 s52, s55, s33
	s_mul_i32 s50, s49, s51
	s_add_co_ci_u32 s51, s48, 0
	s_wait_alu 0xfffe
	s_add_nc_u64 s[50:51], s[52:53], s[50:51]
	s_wait_alu 0xfffe
	v_add_co_u32 v1, s33, v1, s50
	s_delay_alu instid0(VALU_DEP_1) | instskip(SKIP_1) | instid1(VALU_DEP_1)
	s_cmp_lg_u32 s33, 0
	s_add_co_ci_u32 s33, s49, s51
	v_readfirstlane_b32 s43, v1
	s_wait_alu 0xfffe
	s_mul_hi_u32 s49, s22, s33
	s_mul_i32 s48, s22, s33
	s_mul_hi_u32 s51, s23, s33
	s_mul_i32 s50, s23, s33
	;; [unrolled: 2-line block ×3, first 2 shown]
	s_wait_alu 0xfffe
	s_add_nc_u64 s[48:49], s[46:47], s[48:49]
	s_mul_hi_u32 s43, s23, s43
	s_wait_alu 0xfffe
	s_add_co_u32 s33, s48, s33
	s_add_co_ci_u32 s52, s49, s43
	s_add_co_ci_u32 s51, s51, 0
	s_wait_alu 0xfffe
	s_add_nc_u64 s[48:49], s[52:53], s[50:51]
	s_wait_alu 0xfffe
	s_mul_u64 s[50:51], s[44:45], s[48:49]
	s_add_nc_u64 s[52:53], s[48:49], 1
	s_wait_alu 0xfffe
	v_sub_co_u32 v1, s33, s22, s50
	s_sub_co_i32 s43, s23, s51
	s_cmp_lg_u32 s33, 0
	s_add_nc_u64 s[54:55], s[48:49], 2
	s_delay_alu instid0(VALU_DEP_1) | instskip(SKIP_2) | instid1(VALU_DEP_1)
	v_sub_co_u32 v2, s46, v1, s44
	s_sub_co_ci_u32 s43, s43, s45
	s_cmp_lg_u32 s46, 0
	v_readfirstlane_b32 s46, v2
	s_sub_co_ci_u32 s43, s43, 0
	s_delay_alu instid0(SALU_CYCLE_1) | instskip(SKIP_1) | instid1(VALU_DEP_1)
	s_cmp_ge_u32 s43, s45
	s_cselect_b32 s50, -1, 0
	s_cmp_ge_u32 s46, s44
	s_cselect_b32 s46, -1, 0
	s_cmp_eq_u32 s43, s45
	s_wait_alu 0xfffe
	s_cselect_b32 s43, s46, s50
	s_delay_alu instid0(SALU_CYCLE_1)
	s_cmp_lg_u32 s43, 0
	s_cselect_b32 s43, s54, s52
	s_cselect_b32 s46, s55, s53
	s_cmp_lg_u32 s33, 0
	v_readfirstlane_b32 s33, v1
	s_sub_co_ci_u32 s50, s23, s51
	s_wait_alu 0xfffe
	s_cmp_ge_u32 s50, s45
	s_cselect_b32 s51, -1, 0
	s_cmp_ge_u32 s33, s44
	s_cselect_b32 s33, -1, 0
	s_cmp_eq_u32 s50, s45
	s_wait_alu 0xfffe
	s_cselect_b32 s33, s33, s51
	s_wait_alu 0xfffe
	s_cmp_lg_u32 s33, 0
	s_cselect_b32 s49, s46, s49
	s_cselect_b32 s48, s43, s48
.LBB0_6:                                ;   in Loop: Header=BB0_4 Depth=1
	s_and_not1_b32 vcc_lo, exec_lo, s47
	s_cbranch_vccnz .LBB0_8
; %bb.7:                                ;   in Loop: Header=BB0_4 Depth=1
	v_cvt_f32_u32_e32 v1, s44
	s_sub_co_i32 s43, 0, s44
	s_mov_b32 s49, s42
	s_delay_alu instid0(VALU_DEP_1) | instskip(NEXT) | instid1(TRANS32_DEP_1)
	v_rcp_iflag_f32_e32 v1, v1
	v_mul_f32_e32 v1, 0x4f7ffffe, v1
	s_delay_alu instid0(VALU_DEP_1) | instskip(NEXT) | instid1(VALU_DEP_1)
	v_cvt_u32_f32_e32 v1, v1
	v_readfirstlane_b32 s33, v1
	s_delay_alu instid0(VALU_DEP_1) | instskip(NEXT) | instid1(SALU_CYCLE_1)
	s_mul_i32 s43, s43, s33
	s_mul_hi_u32 s43, s33, s43
	s_delay_alu instid0(SALU_CYCLE_1)
	s_add_co_i32 s33, s33, s43
	s_wait_alu 0xfffe
	s_mul_hi_u32 s33, s22, s33
	s_wait_alu 0xfffe
	s_mul_i32 s43, s33, s44
	s_add_co_i32 s46, s33, 1
	s_sub_co_i32 s43, s22, s43
	s_delay_alu instid0(SALU_CYCLE_1)
	s_sub_co_i32 s47, s43, s44
	s_cmp_ge_u32 s43, s44
	s_cselect_b32 s33, s46, s33
	s_cselect_b32 s43, s47, s43
	s_wait_alu 0xfffe
	s_add_co_i32 s46, s33, 1
	s_cmp_ge_u32 s43, s44
	s_cselect_b32 s48, s46, s33
.LBB0_8:                                ;   in Loop: Header=BB0_4 Depth=1
	s_load_b64 s[46:47], s[38:39], 0x0
	s_load_b64 s[50:51], s[36:37], 0x0
	s_add_nc_u64 s[40:41], s[40:41], 1
	s_mul_u64 s[2:3], s[44:45], s[2:3]
	s_wait_alu 0xfffe
	v_cmp_ge_u64_e64 s33, s[40:41], s[10:11]
	s_mul_u64 s[44:45], s[48:49], s[44:45]
	s_add_nc_u64 s[36:37], s[36:37], 8
	s_wait_alu 0xfffe
	s_sub_nc_u64 s[22:23], s[22:23], s[44:45]
	s_add_nc_u64 s[38:39], s[38:39], 8
	s_add_nc_u64 s[16:17], s[16:17], 8
	s_and_b32 vcc_lo, exec_lo, s33
	s_wait_kmcnt 0x0
	s_wait_alu 0xfffe
	s_mul_u64 s[44:45], s[46:47], s[22:23]
	s_mul_u64 s[22:23], s[50:51], s[22:23]
	s_wait_alu 0xfffe
	s_add_nc_u64 s[34:35], s[44:45], s[34:35]
	s_add_nc_u64 s[20:21], s[22:23], s[20:21]
	s_cbranch_vccnz .LBB0_10
; %bb.9:                                ;   in Loop: Header=BB0_4 Depth=1
	s_mov_b64 s[22:23], s[48:49]
	s_branch .LBB0_4
.LBB0_10:
	v_cmp_lt_u64_e64 s3, s[30:31], s[2:3]
	s_mov_b64 s[22:23], 0
	s_delay_alu instid0(VALU_DEP_1)
	s_and_b32 vcc_lo, exec_lo, s3
	s_cbranch_vccnz .LBB0_12
; %bb.11:
	v_cvt_f32_u32_e32 v1, s2
	s_sub_co_i32 s16, 0, s2
	s_mov_b32 s23, 0
	s_delay_alu instid0(VALU_DEP_1) | instskip(NEXT) | instid1(TRANS32_DEP_1)
	v_rcp_iflag_f32_e32 v1, v1
	v_mul_f32_e32 v1, 0x4f7ffffe, v1
	s_delay_alu instid0(VALU_DEP_1) | instskip(NEXT) | instid1(VALU_DEP_1)
	v_cvt_u32_f32_e32 v1, v1
	v_readfirstlane_b32 s3, v1
	s_delay_alu instid0(VALU_DEP_1) | instskip(NEXT) | instid1(SALU_CYCLE_1)
	s_mul_i32 s16, s16, s3
	s_mul_hi_u32 s16, s3, s16
	s_delay_alu instid0(SALU_CYCLE_1)
	s_add_co_i32 s3, s3, s16
	s_wait_alu 0xfffe
	s_mul_hi_u32 s3, s30, s3
	s_wait_alu 0xfffe
	s_mul_i32 s16, s3, s2
	s_add_co_i32 s17, s3, 1
	s_sub_co_i32 s16, s30, s16
	s_delay_alu instid0(SALU_CYCLE_1)
	s_sub_co_i32 s22, s16, s2
	s_cmp_ge_u32 s16, s2
	s_cselect_b32 s3, s17, s3
	s_wait_alu 0xfffe
	s_cselect_b32 s16, s22, s16
	s_add_co_i32 s17, s3, 1
	s_cmp_ge_u32 s16, s2
	s_cselect_b32 s22, s17, s3
.LBB0_12:
	s_lshl_b64 s[10:11], s[10:11], 3
	s_load_b128 s[0:3], s[0:1], 0x58
	s_add_nc_u64 s[16:17], s[18:19], s[10:11]
	s_add_nc_u64 s[10:11], s[28:29], s[10:11]
	s_load_b64 s[18:19], s[16:17], 0x0
	s_load_b64 s[10:11], s[10:11], 0x0
	s_add_nc_u64 s[16:17], s[26:27], 16
	v_lshrrev_b32_e32 v5, 4, v0
	v_cmp_le_u64_e64 s28, s[16:17], s[24:25]
	v_and_b32_e32 v6, 15, v0
	s_mov_b32 s29, 0
	s_delay_alu instid0(VALU_DEP_2) | instskip(SKIP_2) | instid1(SALU_CYCLE_1)
	s_and_b32 vcc_lo, exec_lo, s28
	s_wait_kmcnt 0x0
	s_mul_u64 s[18:19], s[18:19], s[22:23]
	s_add_nc_u64 s[18:19], s[18:19], s[34:35]
	s_cbranch_vccz .LBB0_16
; %bb.13:
	v_or_b32_e32 v12, 8, v5
	v_mad_co_u64_u32 v[1:2], null, s14, v6, 0
	v_mad_co_u64_u32 v[3:4], null, s12, v5, 0
	s_delay_alu instid0(VALU_DEP_3)
	v_mad_co_u64_u32 v[7:8], null, s12, v12, 0
	v_or_b32_e32 v13, 16, v5
	s_lshl_b64 s[30:31], s[18:19], 4
	v_or_b32_e32 v14, 32, v5
	s_wait_alu 0xfffe
	s_add_nc_u64 s[30:31], s[0:1], s[30:31]
	s_delay_alu instid0(VALU_DEP_4)
	v_mad_co_u64_u32 v[9:10], null, s15, v6, v[2:3]
	v_mad_co_u64_u32 v[16:17], null, s12, v13, 0
	;; [unrolled: 1-line block ×3, first 2 shown]
	v_mov_b32_e32 v4, v8
	v_or_b32_e32 v11, 24, v5
	v_mov_b32_e32 v2, v9
	v_mad_co_u64_u32 v[20:21], null, s12, v14, 0
	s_delay_alu instid0(VALU_DEP_4) | instskip(SKIP_4) | instid1(VALU_DEP_4)
	v_mad_co_u64_u32 v[8:9], null, s13, v12, v[4:5]
	v_mov_b32_e32 v9, v17
	v_mad_co_u64_u32 v[18:19], null, s12, v11, 0
	v_mov_b32_e32 v4, v10
	v_or_b32_e32 v27, 40, v5
	v_mad_co_u64_u32 v[9:10], null, s13, v13, v[9:10]
	v_lshlrev_b64_e32 v[7:8], 4, v[7:8]
	s_delay_alu instid0(VALU_DEP_4) | instskip(NEXT) | instid1(VALU_DEP_4)
	v_lshlrev_b64_e32 v[3:4], 4, v[3:4]
	v_mad_co_u64_u32 v[22:23], null, s12, v27, 0
	v_or_b32_e32 v28, 48, v5
	v_mov_b32_e32 v17, v9
	v_lshlrev_b64_e32 v[1:2], 4, v[1:2]
	s_delay_alu instid0(VALU_DEP_2) | instskip(SKIP_1) | instid1(VALU_DEP_2)
	v_lshlrev_b64_e32 v[16:17], 4, v[16:17]
	s_wait_alu 0xfffe
	v_add_co_u32 v1, vcc_lo, s30, v1
	s_delay_alu instid0(VALU_DEP_3) | instskip(SKIP_1) | instid1(VALU_DEP_2)
	v_add_co_ci_u32_e32 v2, vcc_lo, s31, v2, vcc_lo
	s_mov_b32 s30, 0
	v_add_co_u32 v3, vcc_lo, v1, v3
	s_wait_alu 0xfffd
	s_delay_alu instid0(VALU_DEP_2)
	v_add_co_ci_u32_e32 v4, vcc_lo, v2, v4, vcc_lo
	v_add_co_u32 v12, vcc_lo, v1, v7
	v_mov_b32_e32 v7, v19
	s_wait_alu 0xfffd
	v_add_co_ci_u32_e32 v13, vcc_lo, v2, v8, vcc_lo
	v_mov_b32_e32 v8, v21
	v_add_co_u32 v16, vcc_lo, v1, v16
	s_wait_alu 0xfffd
	v_add_co_ci_u32_e32 v17, vcc_lo, v2, v17, vcc_lo
	s_delay_alu instid0(VALU_DEP_3)
	v_mad_co_u64_u32 v[24:25], null, s13, v11, v[7:8]
	v_mad_co_u64_u32 v[7:8], null, s13, v14, v[8:9]
	;; [unrolled: 1-line block ×3, first 2 shown]
	s_clause 0x1
	global_load_b128 v[8:11], v[3:4], off
	global_load_b128 v[12:15], v[12:13], off
	v_mov_b32_e32 v3, v23
	v_mov_b32_e32 v19, v24
	s_mov_b32 s31, exec_lo
	v_mov_b32_e32 v21, v7
	v_mad_u32_u24 v7, 0x390, v6, 0
	v_mad_co_u64_u32 v[3:4], null, s13, v27, v[3:4]
	v_mov_b32_e32 v4, v26
	v_lshlrev_b64_e32 v[18:19], 4, v[18:19]
	v_lshlrev_b64_e32 v[20:21], 4, v[20:21]
	s_delay_alu instid0(VALU_DEP_3) | instskip(SKIP_1) | instid1(VALU_DEP_4)
	v_mad_co_u64_u32 v[26:27], null, s13, v28, v[4:5]
	v_mov_b32_e32 v23, v3
	v_add_co_u32 v3, vcc_lo, v1, v18
	s_wait_alu 0xfffd
	v_add_co_ci_u32_e32 v4, vcc_lo, v2, v19, vcc_lo
	s_delay_alu instid0(VALU_DEP_3) | instskip(SKIP_4) | instid1(VALU_DEP_4)
	v_lshlrev_b64_e32 v[18:19], 4, v[22:23]
	v_add_co_u32 v27, vcc_lo, v1, v20
	s_wait_alu 0xfffd
	v_add_co_ci_u32_e32 v28, vcc_lo, v2, v21, vcc_lo
	v_lshlrev_b64_e32 v[20:21], 4, v[25:26]
	v_add_co_u32 v29, vcc_lo, v1, v18
	s_wait_alu 0xfffd
	v_add_co_ci_u32_e32 v30, vcc_lo, v2, v19, vcc_lo
	s_delay_alu instid0(VALU_DEP_3)
	v_add_co_u32 v32, vcc_lo, v1, v20
	s_wait_alu 0xfffd
	v_add_co_ci_u32_e32 v33, vcc_lo, v2, v21, vcc_lo
	s_clause 0x4
	global_load_b128 v[16:19], v[16:17], off
	global_load_b128 v[20:23], v[3:4], off
	;; [unrolled: 1-line block ×5, first 2 shown]
	v_lshl_add_u32 v3, v5, 4, v7
	s_wait_loadcnt 0x6
	ds_store_b128 v3, v[8:11]
	s_wait_loadcnt 0x5
	ds_store_b128 v3, v[12:15] offset:128
	s_wait_loadcnt 0x4
	ds_store_b128 v3, v[16:19] offset:256
	;; [unrolled: 2-line block ×6, first 2 shown]
                                        ; implicit-def: $vgpr3_vgpr4
	v_cmpx_gt_u32_e32 16, v0
; %bb.14:
	v_mad_co_u64_u32 v[3:4], null, 0x380, s12, v[1:2]
	s_mov_b32 s29, exec_lo
	s_delay_alu instid0(VALU_DEP_1) | instskip(NEXT) | instid1(VALU_DEP_1)
	v_mov_b32_e32 v1, v4
	v_mad_co_u64_u32 v[1:2], null, 0x380, s13, v[1:2]
	s_delay_alu instid0(VALU_DEP_1)
	v_mov_b32_e32 v4, v1
; %bb.15:
	s_wait_alu 0xfffe
	s_or_b32 exec_lo, exec_lo, s31
	s_delay_alu instid0(SALU_CYCLE_1)
	s_and_b32 vcc_lo, exec_lo, s30
	s_wait_alu 0xfffe
	s_cbranch_vccnz .LBB0_17
	s_branch .LBB0_25
.LBB0_16:
                                        ; implicit-def: $vgpr7
                                        ; implicit-def: $vgpr3_vgpr4
	s_cbranch_execz .LBB0_25
.LBB0_17:
	v_mov_b32_e32 v2, s27
	v_or_b32_e32 v1, s26, v6
	s_mov_b32 s26, exec_lo
                                        ; implicit-def: $vgpr7
                                        ; implicit-def: $vgpr3_vgpr4
	s_delay_alu instid0(VALU_DEP_1)
	v_cmpx_gt_u64_e64 s[24:25], v[1:2]
	s_cbranch_execz .LBB0_24
; %bb.18:
	v_mad_co_u64_u32 v[1:2], null, s14, v6, 0
	v_mad_co_u64_u32 v[3:4], null, s12, v5, 0
	v_or_b32_e32 v12, 8, v5
	v_or_b32_e32 v13, 16, v5
	;; [unrolled: 1-line block ×5, first 2 shown]
	v_mad_co_u64_u32 v[10:11], null, s12, v12, 0
	v_mad_co_u64_u32 v[7:8], null, s15, v6, v[2:3]
	;; [unrolled: 1-line block ×4, first 2 shown]
	s_delay_alu instid0(VALU_DEP_4)
	v_mov_b32_e32 v4, v11
	v_mad_co_u64_u32 v[16:17], null, s12, v22, 0
	v_mov_b32_e32 v2, v7
	s_lshl_b64 s[14:15], s[18:19], 4
	v_mad_co_u64_u32 v[18:19], null, s12, v24, 0
	v_mov_b32_e32 v7, v15
	v_mad_co_u64_u32 v[11:12], null, s13, v12, v[4:5]
	v_mov_b32_e32 v4, v8
	v_lshlrev_b64_e32 v[1:2], 4, v[1:2]
	s_wait_alu 0xfffe
	s_add_nc_u64 s[0:1], s[0:1], s[14:15]
	v_mad_co_u64_u32 v[20:21], null, s12, v26, 0
	v_lshlrev_b64_e32 v[3:4], 4, v[3:4]
	v_or_b32_e32 v27, 48, v5
	v_add_co_u32 v8, vcc_lo, s0, v1
	s_wait_alu 0xfffd
	v_add_co_ci_u32_e32 v9, vcc_lo, s1, v2, vcc_lo
	v_lshlrev_b64_e32 v[1:2], 4, v[10:11]
	s_delay_alu instid0(VALU_DEP_3) | instskip(SKIP_1) | instid1(VALU_DEP_3)
	v_add_co_u32 v3, vcc_lo, v8, v3
	s_wait_alu 0xfffd
	v_add_co_ci_u32_e32 v4, vcc_lo, v9, v4, vcc_lo
	v_mad_co_u64_u32 v[10:11], null, s13, v13, v[7:8]
	s_delay_alu instid0(VALU_DEP_4)
	v_add_co_u32 v11, vcc_lo, v8, v1
	v_mov_b32_e32 v1, v17
	s_wait_alu 0xfffd
	v_add_co_ci_u32_e32 v12, vcc_lo, v9, v2, vcc_lo
	v_dual_mov_b32 v2, v19 :: v_dual_mov_b32 v7, v21
	v_mov_b32_e32 v15, v10
	s_or_b64 s[14:15], s[16:17], s[24:25]
	s_mov_b32 s14, 0
	s_delay_alu instid0(VALU_DEP_2)
	v_mad_co_u64_u32 v[22:23], null, s13, v22, v[1:2]
	v_mad_co_u64_u32 v[23:24], null, s13, v24, v[2:3]
	;; [unrolled: 1-line block ×3, first 2 shown]
	v_lshlrev_b64_e32 v[14:15], 4, v[14:15]
	s_clause 0x1
	global_load_b128 v[1:4], v[3:4], off
	global_load_b128 v[10:13], v[11:12], off
	v_mov_b32_e32 v17, v22
	v_mad_co_u64_u32 v[21:22], null, s13, v26, v[7:8]
	v_mov_b32_e32 v19, v23
	v_mov_b32_e32 v7, v25
	s_delay_alu instid0(VALU_DEP_4) | instskip(SKIP_1) | instid1(VALU_DEP_4)
	v_lshlrev_b64_e32 v[16:17], 4, v[16:17]
	v_add_co_u32 v14, vcc_lo, v8, v14
	v_lshlrev_b64_e32 v[18:19], 4, v[18:19]
	s_delay_alu instid0(VALU_DEP_4)
	v_mad_co_u64_u32 v[22:23], null, s13, v27, v[7:8]
	s_wait_alu 0xfffd
	v_add_co_ci_u32_e32 v15, vcc_lo, v9, v15, vcc_lo
	v_add_co_u32 v26, vcc_lo, v8, v16
	s_wait_alu 0xfffd
	v_add_co_ci_u32_e32 v27, vcc_lo, v9, v17, vcc_lo
	s_delay_alu instid0(VALU_DEP_4)
	v_mov_b32_e32 v25, v22
	v_lshlrev_b64_e32 v[16:17], 4, v[20:21]
	v_add_co_u32 v22, vcc_lo, v8, v18
	s_wait_alu 0xfffd
	v_add_co_ci_u32_e32 v23, vcc_lo, v9, v19, vcc_lo
	v_lshlrev_b64_e32 v[18:19], 4, v[24:25]
	s_delay_alu instid0(VALU_DEP_4) | instskip(SKIP_3) | instid1(VALU_DEP_4)
	v_add_co_u32 v28, vcc_lo, v8, v16
	s_wait_alu 0xfffd
	v_add_co_ci_u32_e32 v29, vcc_lo, v9, v17, vcc_lo
	v_mad_u32_u24 v7, 0x390, v6, 0
	v_add_co_u32 v30, vcc_lo, v8, v18
	s_wait_alu 0xfffd
	v_add_co_ci_u32_e32 v31, vcc_lo, v9, v19, vcc_lo
	s_clause 0x4
	global_load_b128 v[14:17], v[14:15], off
	global_load_b128 v[18:21], v[26:27], off
	;; [unrolled: 1-line block ×5, first 2 shown]
	v_lshl_add_u32 v6, v5, 4, v7
	s_wait_alu 0xfffe
	s_cmp_lg_u64 s[14:15], 0
	s_wait_loadcnt 0x6
	ds_store_b128 v6, v[1:4]
	s_wait_loadcnt 0x5
	ds_store_b128 v6, v[10:13] offset:128
	s_wait_loadcnt 0x4
	ds_store_b128 v6, v[14:17] offset:256
	;; [unrolled: 2-line block ×6, first 2 shown]
	s_cbranch_scc0 .LBB0_44
; %bb.19:
	s_cvt_f32_u32 s0, s24
	s_cvt_f32_u32 s1, s25
	s_sub_nc_u64 s[18:19], 0, s[24:25]
	s_mov_b32 s31, s14
	s_mov_b32 s37, s14
	s_wait_alu 0xfffe
	s_fmamk_f32 s0, s1, 0x4f800000, s0
	s_wait_alu 0xfffe
	s_delay_alu instid0(SALU_CYCLE_2) | instskip(NEXT) | instid1(TRANS32_DEP_1)
	v_s_rcp_f32 s0, s0
	s_mul_f32 s0, s0, 0x5f7ffffc
	s_wait_alu 0xfffe
	s_delay_alu instid0(SALU_CYCLE_2) | instskip(SKIP_1) | instid1(SALU_CYCLE_2)
	s_mul_f32 s1, s0, 0x2f800000
	s_wait_alu 0xfffe
	s_trunc_f32 s1, s1
	s_wait_alu 0xfffe
	s_delay_alu instid0(SALU_CYCLE_2) | instskip(SKIP_2) | instid1(SALU_CYCLE_1)
	s_fmamk_f32 s0, s1, 0xcf800000, s0
	s_cvt_u32_f32 s1, s1
	s_wait_alu 0xfffe
	s_cvt_u32_f32 s0, s0
	s_wait_alu 0xfffe
	s_delay_alu instid0(SALU_CYCLE_2) | instskip(NEXT) | instid1(SALU_CYCLE_1)
	s_mul_u64 s[34:35], s[18:19], s[0:1]
	s_mul_hi_u32 s39, s0, s35
	s_mul_i32 s38, s0, s35
	s_mul_hi_u32 s30, s0, s34
	s_mul_i32 s27, s1, s34
	s_wait_alu 0xfffe
	s_add_nc_u64 s[30:31], s[30:31], s[38:39]
	s_mul_hi_u32 s15, s1, s34
	s_mul_hi_u32 s33, s1, s35
	s_wait_alu 0xfffe
	s_add_co_u32 s27, s30, s27
	s_add_co_ci_u32 s36, s31, s15
	s_mul_i32 s34, s1, s35
	s_add_co_ci_u32 s35, s33, 0
	s_delay_alu instid0(SALU_CYCLE_1) | instskip(SKIP_3) | instid1(VALU_DEP_1)
	s_add_nc_u64 s[30:31], s[36:37], s[34:35]
	s_mov_b32 s35, s14
	s_wait_alu 0xfffe
	v_add_co_u32 v1, s15, s0, s30
	s_cmp_lg_u32 s15, 0
	s_add_co_ci_u32 s1, s1, s31
	s_delay_alu instid0(VALU_DEP_1) | instskip(SKIP_2) | instid1(VALU_DEP_1)
	v_readfirstlane_b32 s0, v1
	s_mov_b32 s31, s14
	s_wait_alu 0xfffe
	s_mul_u64 s[18:19], s[18:19], s[0:1]
	s_delay_alu instid0(SALU_CYCLE_1)
	s_mul_hi_u32 s37, s0, s19
	s_mul_i32 s36, s0, s19
	s_mul_hi_u32 s30, s0, s18
	s_mul_i32 s27, s1, s18
	s_wait_alu 0xfffe
	s_add_nc_u64 s[30:31], s[30:31], s[36:37]
	s_mul_hi_u32 s15, s1, s18
	s_mul_hi_u32 s0, s1, s19
	s_mul_i32 s18, s1, s19
	s_wait_alu 0xfffe
	s_add_co_u32 s19, s30, s27
	s_add_co_ci_u32 s34, s31, s15
	s_add_co_ci_u32 s19, s0, 0
	s_mov_b32 s31, s14
	s_add_nc_u64 s[18:19], s[34:35], s[18:19]
	s_delay_alu instid0(SALU_CYCLE_1) | instskip(NEXT) | instid1(VALU_DEP_1)
	v_add_co_u32 v1, s0, v1, s18
	s_cmp_lg_u32 s0, 0
	s_add_co_ci_u32 s15, s1, s19
	s_delay_alu instid0(VALU_DEP_1)
	v_readfirstlane_b32 s19, v1
	s_wait_alu 0xfffe
	s_mul_hi_u32 s1, s16, s15
	s_mul_i32 s0, s16, s15
	s_mul_hi_u32 s27, s17, s15
	s_mul_i32 s18, s17, s15
	;; [unrolled: 2-line block ×3, first 2 shown]
	s_wait_alu 0xfffe
	s_add_nc_u64 s[0:1], s[30:31], s[0:1]
	s_mul_hi_u32 s19, s17, s19
	s_wait_alu 0xfffe
	s_add_co_u32 s0, s0, s15
	s_add_co_ci_u32 s34, s1, s19
	s_add_co_ci_u32 s19, s27, 0
	s_wait_alu 0xfffe
	s_add_nc_u64 s[0:1], s[34:35], s[18:19]
	s_wait_alu 0xfffe
	s_mul_u64 s[0:1], s[24:25], s[0:1]
	s_wait_alu 0xfffe
	v_sub_co_u32 v1, s0, s16, s0
	s_sub_co_i32 s15, s17, s1
	s_cmp_lg_u32 s0, 0
	s_delay_alu instid0(VALU_DEP_1)
	v_sub_co_u32 v2, s18, v1, s24
	s_wait_alu 0xfffe
	s_sub_co_ci_u32 s15, s15, s25
	s_cmp_lg_u32 s18, 0
	s_wait_alu 0xfffe
	s_sub_co_ci_u32 s19, s15, 0
	v_cmp_le_u32_e32 vcc_lo, s24, v2
	s_wait_alu 0xfffe
	s_cmp_ge_u32 s19, s25
	s_cselect_b32 s27, -1, 0
	s_cmp_eq_u32 s19, s25
	s_wait_alu 0xfffd
	v_cndmask_b32_e64 v3, 0, -1, vcc_lo
	s_cselect_b32 vcc_lo, -1, 0
	s_cmp_lg_u32 s18, 0
	v_sub_co_u32 v4, s18, v2, s24
	s_sub_co_ci_u32 s15, s15, s25
	s_cmp_lg_u32 s18, 0
	s_wait_alu 0xfffe
	v_cndmask_b32_e32 v3, s27, v3, vcc_lo
	s_sub_co_ci_u32 s15, s15, 0
	s_cmp_lg_u32 s0, 0
	v_cmp_le_u32_e32 vcc_lo, s24, v1
	s_sub_co_ci_u32 s1, s17, s1
	s_wait_alu 0xfffe
	s_cmp_ge_u32 s1, s25
	s_wait_alu 0xfffd
	v_cndmask_b32_e64 v6, 0, -1, vcc_lo
	s_cselect_b32 s17, -1, 0
	s_cmp_eq_u32 s1, s25
	v_cmp_ne_u32_e32 vcc_lo, 0, v3
	s_cselect_b32 s0, -1, 0
	v_mov_b32_e32 v3, s15
	s_wait_alu 0xfffe
	v_cndmask_b32_e64 v6, s17, v6, s0
	s_wait_alu 0xfffd
	v_cndmask_b32_e32 v2, v2, v4, vcc_lo
	v_cndmask_b32_e32 v3, s19, v3, vcc_lo
	s_delay_alu instid0(VALU_DEP_3) | instskip(SKIP_1) | instid1(VALU_DEP_2)
	v_cmp_ne_u32_e32 vcc_lo, 0, v6
	s_wait_alu 0xfffd
	v_cndmask_b32_e32 v3, s1, v3, vcc_lo
	v_cndmask_b32_e32 v2, v1, v2, vcc_lo
	s_and_not1_b32 vcc_lo, exec_lo, s14
	s_wait_alu 0xfffe
	s_cbranch_vccnz .LBB0_21
.LBB0_20:
	v_cvt_f32_u32_e32 v1, s24
	s_sub_co_i32 s1, 0, s24
	s_delay_alu instid0(VALU_DEP_1) | instskip(NEXT) | instid1(TRANS32_DEP_1)
	v_rcp_iflag_f32_e32 v1, v1
	v_mul_f32_e32 v1, 0x4f7ffffe, v1
	s_delay_alu instid0(VALU_DEP_1) | instskip(NEXT) | instid1(VALU_DEP_1)
	v_cvt_u32_f32_e32 v1, v1
	v_readfirstlane_b32 s0, v1
	s_wait_alu 0xfffe
	s_delay_alu instid0(VALU_DEP_1)
	s_mul_i32 s1, s1, s0
	s_wait_alu 0xfffe
	s_mul_hi_u32 s1, s0, s1
	s_wait_alu 0xfffe
	s_add_co_i32 s0, s0, s1
	s_wait_alu 0xfffe
	s_mul_hi_u32 s0, s16, s0
	s_wait_alu 0xfffe
	s_mul_i32 s0, s0, s24
	s_wait_alu 0xfffe
	s_sub_co_i32 s0, s16, s0
	s_wait_alu 0xfffe
	s_sub_co_i32 s1, s0, s24
	s_cmp_ge_u32 s0, s24
	s_wait_alu 0xfffe
	s_cselect_b32 s0, s1, s0
	s_mov_b32 s1, 0
	s_wait_alu 0xfffe
	s_sub_co_i32 s14, s0, s24
	s_cmp_ge_u32 s0, s24
	s_wait_alu 0xfffe
	s_cselect_b32 s0, s14, s0
	s_wait_alu 0xfffe
	v_dual_mov_b32 v3, s1 :: v_dual_mov_b32 v2, s0
.LBB0_21:
	s_delay_alu instid0(VALU_DEP_1) | instskip(SKIP_2) | instid1(VALU_DEP_3)
	v_sub_co_u32 v2, vcc_lo, 16, v2
	v_mov_b32_e32 v1, 0
	s_wait_alu 0xfffd
	v_sub_co_ci_u32_e32 v3, vcc_lo, 0, v3, vcc_lo
	s_mov_b32 s1, s29
	s_delay_alu instid0(VALU_DEP_1)
	v_cmp_gt_u64_e32 vcc_lo, v[2:3], v[0:1]
                                        ; implicit-def: $vgpr3_vgpr4
	s_and_saveexec_b32 s0, vcc_lo
; %bb.22:
	v_or_b32_e32 v3, 56, v5
	s_or_b32 s1, s29, exec_lo
	s_delay_alu instid0(VALU_DEP_1) | instskip(NEXT) | instid1(VALU_DEP_1)
	v_mad_co_u64_u32 v[1:2], null, s12, v3, 0
	v_mad_co_u64_u32 v[2:3], null, s13, v3, v[2:3]
	s_delay_alu instid0(VALU_DEP_1) | instskip(NEXT) | instid1(VALU_DEP_1)
	v_lshlrev_b64_e32 v[1:2], 4, v[1:2]
	v_add_co_u32 v3, vcc_lo, v8, v1
	s_wait_alu 0xfffd
	s_delay_alu instid0(VALU_DEP_2)
	v_add_co_ci_u32_e32 v4, vcc_lo, v9, v2, vcc_lo
; %bb.23:
	s_wait_alu 0xfffe
	s_or_b32 exec_lo, exec_lo, s0
	s_delay_alu instid0(SALU_CYCLE_1)
	s_and_not1_b32 s0, s29, exec_lo
	s_and_b32 s1, s1, exec_lo
	s_wait_alu 0xfffe
	s_or_b32 s29, s0, s1
.LBB0_24:
	s_wait_alu 0xfffe
	s_or_b32 exec_lo, exec_lo, s26
.LBB0_25:
	s_and_saveexec_b32 s0, s29
	s_cbranch_execz .LBB0_27
; %bb.26:
	global_load_b128 v[1:4], v[3:4], off
	s_wait_loadcnt 0x0
	ds_store_2addr_b64 v7, v[1:2], v[3:4] offset0:112 offset1:113
.LBB0_27:
	s_wait_alu 0xfffe
	s_or_b32 exec_lo, exec_lo, s0
	v_lshrrev_b32_e32 v1, 3, v0
	v_and_b32_e32 v33, 7, v0
	global_wb scope:SCOPE_SE
	s_wait_dscnt 0x0
	s_barrier_signal -1
	s_barrier_wait -1
	v_mul_u32_u24_e32 v12, 57, v1
	v_lshlrev_b32_e32 v11, 4, v33
	global_inv scope:SCOPE_SE
	s_mov_b32 s0, exec_lo
                                        ; implicit-def: $vgpr5_vgpr6
	v_lshl_add_u32 v14, v12, 4, 0
	s_delay_alu instid0(VALU_DEP_1)
	v_add_nc_u32_e32 v35, v14, v11
	v_sub_nc_u32_e32 v13, v14, v11
	ds_load_b64 v[7:8], v35
	ds_load_b64 v[9:10], v13 offset:896
	s_wait_dscnt 0x0
	v_add_f64_e32 v[1:2], v[7:8], v[9:10]
	v_add_f64_e64 v[3:4], v[7:8], -v[9:10]
	v_cmpx_ne_u32_e32 0, v33
	s_wait_alu 0xfffe
	s_xor_b32 s0, exec_lo, s0
	s_cbranch_execz .LBB0_29
; %bb.28:
	global_load_b128 v[3:6], v11, s[8:9] offset:784
	ds_load_b64 v[1:2], v13 offset:904
	ds_load_b64 v[14:15], v35 offset:8
	v_add_f64_e32 v[16:17], v[7:8], v[9:10]
	v_add_f64_e64 v[18:19], v[7:8], -v[9:10]
	v_mov_b32_e32 v34, 0
	s_wait_dscnt 0x0
	v_add_f64_e32 v[7:8], v[1:2], v[14:15]
	v_add_f64_e64 v[1:2], v[14:15], -v[1:2]
	s_wait_loadcnt 0x0
	s_delay_alu instid0(VALU_DEP_4) | instskip(SKIP_1) | instid1(VALU_DEP_3)
	v_fma_f64 v[9:10], v[18:19], v[5:6], v[16:17]
	v_fma_f64 v[14:15], -v[18:19], v[5:6], v[16:17]
	v_fma_f64 v[16:17], v[7:8], v[5:6], -v[1:2]
	v_fma_f64 v[5:6], v[7:8], v[5:6], v[1:2]
	s_delay_alu instid0(VALU_DEP_4) | instskip(NEXT) | instid1(VALU_DEP_4)
	v_fma_f64 v[1:2], -v[7:8], v[3:4], v[9:10]
	v_fma_f64 v[7:8], v[7:8], v[3:4], v[14:15]
	s_delay_alu instid0(VALU_DEP_4) | instskip(NEXT) | instid1(VALU_DEP_4)
	v_fma_f64 v[9:10], v[18:19], v[3:4], v[16:17]
	v_fma_f64 v[3:4], v[18:19], v[3:4], v[5:6]
	v_dual_mov_b32 v5, v33 :: v_dual_mov_b32 v6, v34
                                        ; implicit-def: $vgpr14
	ds_store_b128 v13, v[7:10] offset:896
.LBB0_29:
	s_wait_alu 0xfffe
	s_and_not1_saveexec_b32 s0, s0
	s_cbranch_execz .LBB0_31
; %bb.30:
	ds_load_b128 v[5:8], v14 offset:448
	s_wait_dscnt 0x0
	v_add_f64_e32 v[15:16], v[5:6], v[5:6]
	v_mul_f64_e32 v[17:18], -2.0, v[7:8]
	v_mov_b32_e32 v5, 0
	v_mov_b32_e32 v6, 0
	ds_store_b128 v14, v[15:18] offset:448
.LBB0_31:
	s_wait_alu 0xfffe
	s_or_b32 exec_lo, exec_lo, s0
	v_lshlrev_b64_e32 v[5:6], 4, v[5:6]
	s_add_nc_u64 s[0:1], s[8:9], 0x310
	s_wait_alu 0xfffe
	s_delay_alu instid0(VALU_DEP_1) | instskip(SKIP_1) | instid1(VALU_DEP_2)
	v_add_co_u32 v5, vcc_lo, s0, v5
	s_wait_alu 0xfffd
	v_add_co_ci_u32_e32 v6, vcc_lo, s1, v6, vcc_lo
	s_mov_b32 s0, exec_lo
	s_clause 0x1
	global_load_b128 v[7:10], v[5:6], off offset:128
	global_load_b128 v[14:17], v[5:6], off offset:256
	ds_store_b128 v35, v[1:4]
	ds_load_b128 v[1:4], v35 offset:128
	ds_load_b128 v[18:21], v13 offset:768
	s_wait_dscnt 0x0
	v_add_f64_e32 v[22:23], v[1:2], v[18:19]
	v_add_f64_e32 v[24:25], v[20:21], v[3:4]
	v_add_f64_e64 v[26:27], v[1:2], -v[18:19]
	v_add_f64_e64 v[1:2], v[3:4], -v[20:21]
	s_wait_loadcnt 0x1
	s_delay_alu instid0(VALU_DEP_2) | instskip(NEXT) | instid1(VALU_DEP_2)
	v_fma_f64 v[3:4], v[26:27], v[9:10], v[22:23]
	v_fma_f64 v[18:19], v[24:25], v[9:10], v[1:2]
	v_fma_f64 v[20:21], -v[26:27], v[9:10], v[22:23]
	v_fma_f64 v[9:10], v[24:25], v[9:10], -v[1:2]
	s_delay_alu instid0(VALU_DEP_4) | instskip(NEXT) | instid1(VALU_DEP_4)
	v_fma_f64 v[1:2], -v[24:25], v[7:8], v[3:4]
	v_fma_f64 v[3:4], v[26:27], v[7:8], v[18:19]
	s_delay_alu instid0(VALU_DEP_4) | instskip(NEXT) | instid1(VALU_DEP_4)
	v_fma_f64 v[18:19], v[24:25], v[7:8], v[20:21]
	v_fma_f64 v[20:21], v[26:27], v[7:8], v[9:10]
	ds_store_b128 v35, v[1:4] offset:128
	ds_store_b128 v13, v[18:21] offset:768
	ds_load_b128 v[1:4], v35 offset:256
	ds_load_b128 v[7:10], v13 offset:640
	s_wait_dscnt 0x0
	v_add_f64_e32 v[18:19], v[1:2], v[7:8]
	v_add_f64_e32 v[20:21], v[9:10], v[3:4]
	v_add_f64_e64 v[22:23], v[1:2], -v[7:8]
	v_add_f64_e64 v[1:2], v[3:4], -v[9:10]
	s_wait_loadcnt 0x0
	s_delay_alu instid0(VALU_DEP_2) | instskip(NEXT) | instid1(VALU_DEP_2)
	v_fma_f64 v[3:4], v[22:23], v[16:17], v[18:19]
	v_fma_f64 v[7:8], v[20:21], v[16:17], v[1:2]
	v_fma_f64 v[9:10], -v[22:23], v[16:17], v[18:19]
	v_fma_f64 v[16:17], v[20:21], v[16:17], -v[1:2]
	s_delay_alu instid0(VALU_DEP_4) | instskip(NEXT) | instid1(VALU_DEP_4)
	v_fma_f64 v[1:2], -v[20:21], v[14:15], v[3:4]
	v_fma_f64 v[3:4], v[22:23], v[14:15], v[7:8]
	s_delay_alu instid0(VALU_DEP_4) | instskip(NEXT) | instid1(VALU_DEP_4)
	v_fma_f64 v[7:8], v[20:21], v[14:15], v[9:10]
	v_fma_f64 v[9:10], v[22:23], v[14:15], v[16:17]
	v_or_b32_e32 v14, 24, v33
	ds_store_b128 v35, v[1:4] offset:256
	ds_store_b128 v13, v[7:10] offset:640
	v_cmpx_gt_u32_e32 28, v14
	s_cbranch_execz .LBB0_33
; %bb.32:
	global_load_b128 v[1:4], v[5:6], off offset:384
	ds_load_b128 v[5:8], v35 offset:384
	ds_load_b128 v[14:17], v13 offset:512
	s_wait_dscnt 0x0
	v_add_f64_e32 v[9:10], v[5:6], v[14:15]
	v_add_f64_e32 v[18:19], v[16:17], v[7:8]
	v_add_f64_e64 v[14:15], v[5:6], -v[14:15]
	v_add_f64_e64 v[5:6], v[7:8], -v[16:17]
	s_wait_loadcnt 0x0
	s_delay_alu instid0(VALU_DEP_2) | instskip(NEXT) | instid1(VALU_DEP_2)
	v_fma_f64 v[7:8], v[14:15], v[3:4], v[9:10]
	v_fma_f64 v[16:17], v[18:19], v[3:4], v[5:6]
	v_fma_f64 v[9:10], -v[14:15], v[3:4], v[9:10]
	v_fma_f64 v[20:21], v[18:19], v[3:4], -v[5:6]
	s_delay_alu instid0(VALU_DEP_4) | instskip(NEXT) | instid1(VALU_DEP_4)
	v_fma_f64 v[3:4], -v[18:19], v[1:2], v[7:8]
	v_fma_f64 v[5:6], v[14:15], v[1:2], v[16:17]
	s_delay_alu instid0(VALU_DEP_4) | instskip(NEXT) | instid1(VALU_DEP_4)
	v_fma_f64 v[7:8], v[18:19], v[1:2], v[9:10]
	v_fma_f64 v[9:10], v[14:15], v[1:2], v[20:21]
	ds_store_b128 v35, v[3:6] offset:384
	ds_store_b128 v13, v[7:10] offset:512
.LBB0_33:
	s_wait_alu 0xfffe
	s_or_b32 exec_lo, exec_lo, s0
	v_lshlrev_b32_e32 v1, 4, v12
	global_wb scope:SCOPE_SE
	s_wait_dscnt 0x0
	s_barrier_signal -1
	s_barrier_wait -1
	global_inv scope:SCOPE_SE
	v_add3_u32 v34, 0, v11, v1
	global_wb scope:SCOPE_SE
	s_barrier_signal -1
	s_barrier_wait -1
	global_inv scope:SCOPE_SE
	ds_load_b128 v[1:4], v34 offset:128
	ds_load_b128 v[5:8], v34 offset:768
	;; [unrolled: 1-line block ×6, first 2 shown]
	s_mov_b32 s0, 0x37e14327
	s_mov_b32 s1, 0x3fe948f6
	;; [unrolled: 1-line block ×10, first 2 shown]
	v_cmp_eq_u32_e32 vcc_lo, 7, v33
	s_wait_dscnt 0x4
	v_add_f64_e32 v[25:26], v[1:2], v[5:6]
	v_add_f64_e32 v[27:28], v[3:4], v[7:8]
	s_wait_dscnt 0x2
	v_add_f64_e32 v[29:30], v[13:14], v[9:10]
	v_add_f64_e32 v[31:32], v[15:16], v[11:12]
	;; [unrolled: 3-line block ×3, first 2 shown]
	v_add_f64_e64 v[9:10], v[13:14], -v[9:10]
	v_add_f64_e64 v[11:12], v[15:16], -v[11:12]
	;; [unrolled: 1-line block ×6, first 2 shown]
	v_add_f64_e32 v[1:2], v[29:30], v[25:26]
	v_add_f64_e32 v[3:4], v[31:32], v[27:28]
	v_add_f64_e64 v[17:18], v[25:26], -v[36:37]
	v_add_f64_e64 v[19:20], v[27:28], -v[38:39]
	;; [unrolled: 1-line block ×10, first 2 shown]
	v_add_f64_e32 v[9:10], v[13:14], v[9:10]
	v_add_f64_e32 v[11:12], v[15:16], v[11:12]
	v_add_f64_e64 v[13:14], v[5:6], -v[13:14]
	v_add_f64_e64 v[15:16], v[7:8], -v[15:16]
	v_add_f64_e32 v[36:37], v[36:37], v[1:2]
	v_add_f64_e32 v[38:39], v[38:39], v[3:4]
	ds_load_b128 v[1:4], v35
	s_wait_alu 0xfffe
	v_mul_f64_e32 v[17:18], s[0:1], v[17:18]
	v_mul_f64_e32 v[19:20], s[0:1], v[19:20]
	s_mov_b32 s0, 0x429ad128
	v_mul_f64_e32 v[29:30], s[12:13], v[21:22]
	v_mul_f64_e32 v[31:32], s[12:13], v[23:24]
	;; [unrolled: 1-line block ×4, first 2 shown]
	s_mov_b32 s1, 0xbfebfeb5
	s_mov_b32 s14, 0xaaaaaaaa
	s_wait_alu 0xfffe
	v_mul_f64_e32 v[48:49], s[0:1], v[44:45]
	v_mul_f64_e32 v[50:51], s[0:1], v[46:47]
	s_mov_b32 s15, 0xbff2aaaa
	v_add_f64_e32 v[5:6], v[9:10], v[5:6]
	v_add_f64_e32 v[7:8], v[11:12], v[7:8]
	global_wb scope:SCOPE_SE
	s_wait_dscnt 0x0
	s_barrier_signal -1
	s_barrier_wait -1
	global_inv scope:SCOPE_SE
	v_add_f64_e32 v[1:2], v[1:2], v[36:37]
	v_add_f64_e32 v[3:4], v[3:4], v[38:39]
	v_fma_f64 v[9:10], v[21:22], s[12:13], v[17:18]
	v_fma_f64 v[11:12], v[23:24], s[12:13], v[19:20]
	v_fma_f64 v[21:22], v[25:26], s[16:17], -v[29:30]
	v_fma_f64 v[23:24], v[27:28], s[16:17], -v[31:32]
	s_mov_b32 s17, 0xbfe77f67
	v_fma_f64 v[29:30], v[13:14], s[18:19], v[40:41]
	v_fma_f64 v[31:32], v[15:16], s[18:19], v[42:43]
	s_mov_b32 s19, 0x3fd5d0dc
	v_fma_f64 v[40:41], v[44:45], s[0:1], -v[40:41]
	v_fma_f64 v[42:43], v[46:47], s[0:1], -v[42:43]
	s_wait_alu 0xfffe
	v_fma_f64 v[13:14], v[13:14], s[18:19], -v[48:49]
	v_fma_f64 v[15:16], v[15:16], s[18:19], -v[50:51]
	;; [unrolled: 1-line block ×4, first 2 shown]
	s_mov_b32 s0, 0x37c3f68c
	s_mov_b32 s1, 0xbfdc38aa
	v_fma_f64 v[36:37], v[36:37], s[14:15], v[1:2]
	v_fma_f64 v[38:39], v[38:39], s[14:15], v[3:4]
	s_wait_alu 0xfffe
	v_fma_f64 v[27:28], v[5:6], s[0:1], v[29:30]
	v_fma_f64 v[25:26], v[7:8], s[0:1], v[31:32]
	v_fma_f64 v[29:30], v[5:6], s[0:1], v[40:41]
	v_fma_f64 v[31:32], v[7:8], s[0:1], v[42:43]
	v_fma_f64 v[40:41], v[5:6], s[0:1], v[13:14]
	v_fma_f64 v[42:43], v[7:8], s[0:1], v[15:16]
	v_cmp_ne_u32_e64 s0, 7, v33
	v_add_f64_e32 v[44:45], v[9:10], v[36:37]
	v_add_f64_e32 v[46:47], v[11:12], v[38:39]
	;; [unrolled: 1-line block ×7, first 2 shown]
	v_add_f64_e64 v[7:8], v[46:47], -v[27:28]
	v_add_f64_e32 v[9:10], v[48:49], v[42:43]
	v_add_f64_e64 v[11:12], v[50:51], -v[40:41]
	v_add_f64_e64 v[13:14], v[17:18], -v[31:32]
	v_add_f64_e32 v[15:16], v[29:30], v[19:20]
	v_add_f64_e32 v[17:18], v[17:18], v[31:32]
	v_add_f64_e64 v[19:20], v[19:20], -v[29:30]
	v_add_f64_e64 v[21:22], v[48:49], -v[42:43]
	v_add_f64_e32 v[23:24], v[40:41], v[50:51]
	v_add_f64_e64 v[25:26], v[44:45], -v[25:26]
	v_add_f64_e32 v[27:28], v[27:28], v[46:47]
	v_mad_u32_u24 v29, 0x60, v33, v34
                                        ; implicit-def: $vgpr31_vgpr32
	ds_store_b128 v29, v[1:4]
	ds_store_b128 v29, v[5:8] offset:16
	ds_store_b128 v29, v[9:12] offset:32
	;; [unrolled: 1-line block ×6, first 2 shown]
	global_wb scope:SCOPE_SE
	s_wait_dscnt 0x0
	s_barrier_signal -1
	s_barrier_wait -1
	global_inv scope:SCOPE_SE
	s_and_saveexec_b32 s1, s0
	s_cbranch_execz .LBB0_35
; %bb.34:
	ds_load_b128 v[1:4], v35
	ds_load_b128 v[5:8], v34 offset:112
	ds_load_b128 v[9:12], v34 offset:224
	;; [unrolled: 1-line block ×7, first 2 shown]
.LBB0_35:
	s_wait_alu 0xfffe
	s_or_b32 exec_lo, exec_lo, s1
	global_wb scope:SCOPE_SE
	s_wait_dscnt 0x0
	s_barrier_signal -1
	s_barrier_wait -1
	global_inv scope:SCOPE_SE
	s_and_saveexec_b32 s1, s0
	s_cbranch_execz .LBB0_37
; %bb.36:
	v_mul_u32_u24_e32 v33, 7, v33
	s_mov_b32 s13, 0xbfe6a09e
	s_wait_alu 0xfffd
	s_delay_alu instid0(VALU_DEP_1) | instskip(NEXT) | instid1(VALU_DEP_1)
	v_cndmask_b32_e64 v33, v33, 0, vcc_lo
	v_lshlrev_b32_e32 v33, 4, v33
	s_clause 0x6
	global_load_b128 v[36:39], v33, s[8:9] offset:48
	global_load_b128 v[40:43], v33, s[8:9] offset:16
	;; [unrolled: 1-line block ×3, first 2 shown]
	global_load_b128 v[48:51], v33, s[8:9]
	global_load_b128 v[52:55], v33, s[8:9] offset:64
	global_load_b128 v[56:59], v33, s[8:9] offset:32
	;; [unrolled: 1-line block ×3, first 2 shown]
	s_mov_b32 s8, 0x667f3bcd
	s_mov_b32 s9, 0x3fe6a09e
	;; [unrolled: 1-line block ×3, first 2 shown]
	s_wait_loadcnt 0x6
	v_mul_f64_e32 v[64:65], v[17:18], v[38:39]
	s_wait_loadcnt 0x5
	v_mul_f64_e32 v[66:67], v[11:12], v[42:43]
	;; [unrolled: 2-line block ×7, first 2 shown]
	v_mul_f64_e32 v[50:51], v[7:8], v[50:51]
	v_mul_f64_e32 v[42:43], v[9:10], v[42:43]
	;; [unrolled: 1-line block ×7, first 2 shown]
	v_fma_f64 v[19:20], v[19:20], v[36:37], -v[64:65]
	v_fma_f64 v[9:10], v[9:10], v[40:41], v[66:67]
	v_fma_f64 v[25:26], v[25:26], v[44:45], v[68:69]
	v_fma_f64 v[7:8], v[7:8], v[48:49], -v[70:71]
	v_fma_f64 v[23:24], v[23:24], v[52:53], -v[72:73]
	v_fma_f64 v[13:14], v[13:14], v[56:57], v[74:75]
	v_fma_f64 v[29:30], v[29:30], v[60:61], v[76:77]
	;; [unrolled: 1-line block ×3, first 2 shown]
	v_fma_f64 v[11:12], v[11:12], v[40:41], -v[42:43]
	v_fma_f64 v[27:28], v[27:28], v[44:45], -v[46:47]
	v_fma_f64 v[21:22], v[21:22], v[52:53], v[54:55]
	v_fma_f64 v[17:18], v[17:18], v[36:37], v[38:39]
	v_fma_f64 v[15:16], v[15:16], v[56:57], -v[58:59]
	v_fma_f64 v[31:32], v[31:32], v[60:61], -v[62:63]
	v_add_f64_e64 v[19:20], v[3:4], -v[19:20]
	v_add_f64_e64 v[25:26], v[9:10], -v[25:26]
	;; [unrolled: 1-line block ×8, first 2 shown]
	v_fma_f64 v[3:4], v[3:4], 2.0, -v[19:20]
	v_add_f64_e64 v[36:37], v[19:20], -v[25:26]
	v_fma_f64 v[9:10], v[9:10], 2.0, -v[25:26]
	v_fma_f64 v[7:8], v[7:8], 2.0, -v[23:24]
	v_add_f64_e64 v[38:39], v[23:24], -v[29:30]
	v_fma_f64 v[13:14], v[13:14], 2.0, -v[29:30]
	v_fma_f64 v[11:12], v[11:12], 2.0, -v[27:28]
	;; [unrolled: 1-line block ×4, first 2 shown]
	v_add_f64_e32 v[27:28], v[17:18], v[27:28]
	v_fma_f64 v[15:16], v[15:16], 2.0, -v[31:32]
	v_add_f64_e32 v[25:26], v[21:22], v[31:32]
	v_fma_f64 v[31:32], v[19:20], 2.0, -v[36:37]
	v_fma_f64 v[19:20], v[23:24], 2.0, -v[38:39]
	v_add_f64_e64 v[29:30], v[3:4], -v[11:12]
	v_add_f64_e64 v[11:12], v[5:6], -v[13:14]
	;; [unrolled: 1-line block ×3, first 2 shown]
	v_fma_f64 v[42:43], v[17:18], 2.0, -v[27:28]
	v_add_f64_e64 v[13:14], v[7:8], -v[15:16]
	v_fma_f64 v[9:10], v[21:22], 2.0, -v[25:26]
	v_fma_f64 v[15:16], v[38:39], s[8:9], v[36:37]
	v_fma_f64 v[17:18], v[25:26], s[8:9], v[27:28]
	s_wait_alu 0xfffe
	v_fma_f64 v[21:22], v[19:20], s[12:13], v[31:32]
	v_fma_f64 v[44:45], v[3:4], 2.0, -v[29:30]
	v_fma_f64 v[48:49], v[5:6], 2.0, -v[11:12]
	;; [unrolled: 1-line block ×4, first 2 shown]
	v_fma_f64 v[50:51], v[9:10], s[12:13], v[42:43]
	v_add_f64_e64 v[7:8], v[29:30], -v[11:12]
	v_add_f64_e32 v[5:6], v[40:41], v[13:14]
	v_fma_f64 v[3:4], v[25:26], s[12:13], v[15:16]
	v_fma_f64 v[1:2], v[38:39], s[8:9], v[17:18]
	;; [unrolled: 1-line block ×3, first 2 shown]
	v_add_f64_e64 v[13:14], v[46:47], -v[48:49]
	v_add_f64_e64 v[15:16], v[44:45], -v[23:24]
	v_fma_f64 v[9:10], v[19:20], s[8:9], v[50:51]
	v_fma_f64 v[23:24], v[29:30], 2.0, -v[7:8]
	v_fma_f64 v[21:22], v[40:41], 2.0, -v[5:6]
	;; [unrolled: 1-line block ×8, first 2 shown]
	ds_store_b128 v34, v[21:24] offset:224
	ds_store_b128 v34, v[17:20] offset:336
	;; [unrolled: 1-line block ×4, first 2 shown]
	ds_store_b128 v35, v[29:32]
	ds_store_b128 v34, v[25:28] offset:112
	ds_store_b128 v34, v[5:8] offset:672
	ds_store_b128 v34, v[1:4] offset:784
.LBB0_37:
	s_wait_alu 0xfffe
	s_or_b32 exec_lo, exec_lo, s1
	s_mul_u64 s[0:1], s[10:11], s[22:23]
	s_and_b32 vcc_lo, exec_lo, s28
	s_wait_alu 0xfffe
	s_add_nc_u64 s[0:1], s[0:1], s[20:21]
	s_mov_b32 s10, -1
	global_wb scope:SCOPE_SE
	s_wait_dscnt 0x0
	s_barrier_signal -1
	s_barrier_wait -1
	global_inv scope:SCOPE_SE
	s_cbranch_vccz .LBB0_39
; %bb.38:
	v_mul_u32_u24_e32 v1, 0x493, v0
	v_or_b32_e32 v7, 0x80, v0
	v_or_b32_e32 v8, 0x100, v0
	;; [unrolled: 1-line block ×3, first 2 shown]
	s_wait_alu 0xfffe
	s_lshl_b64 s[8:9], s[0:1], 4
	v_lshrrev_b32_e32 v5, 16, v1
	v_and_b32_e32 v3, 0xffff, v7
	v_and_b32_e32 v4, 0xffff, v8
	s_wait_alu 0xfffe
	s_add_nc_u64 s[8:9], s[2:3], s[8:9]
	v_or_b32_e32 v26, 0x300, v0
	v_mul_lo_u16 v6, v5, 56
	v_mul_u32_u24_e32 v3, 0x493, v3
	v_mul_u32_u24_e32 v4, 0x493, v4
	v_mad_co_u64_u32 v[1:2], null, s6, v5, 0
	s_delay_alu instid0(VALU_DEP_4) | instskip(NEXT) | instid1(VALU_DEP_4)
	v_sub_nc_u16 v6, v0, v6
	v_lshrrev_b32_e32 v13, 16, v3
	s_delay_alu instid0(VALU_DEP_4) | instskip(SKIP_1) | instid1(VALU_DEP_3)
	v_lshrrev_b32_e32 v20, 16, v4
	s_mov_b32 s10, 0
	v_mad_u16 v12, v5, 57, v6
	s_delay_alu instid0(VALU_DEP_3) | instskip(SKIP_3) | instid1(VALU_DEP_3)
	v_mad_co_u64_u32 v[9:10], null, s6, v13, 0
	v_and_b32_e32 v11, 0xffff, v6
	v_mul_lo_u16 v14, v13, 56
	v_mul_lo_u16 v15, v20, 56
	v_mad_co_u64_u32 v[3:4], null, s4, v11, 0
	s_delay_alu instid0(VALU_DEP_2) | instskip(NEXT) | instid1(VALU_DEP_1)
	v_sub_nc_u16 v21, v8, v15
	v_and_b32_e32 v22, 0xffff, v21
	s_delay_alu instid0(VALU_DEP_3) | instskip(SKIP_4) | instid1(VALU_DEP_4)
	v_mad_co_u64_u32 v[5:6], null, s7, v5, v[2:3]
	v_sub_nc_u16 v6, v7, v14
	v_mov_b32_e32 v2, v4
	v_mov_b32_e32 v4, v10
	v_and_b32_e32 v14, 0xffff, v12
	v_and_b32_e32 v10, 0xffff, v6
	v_mad_u16 v15, v13, 57, v6
	v_mad_co_u64_u32 v[6:7], null, s5, v11, v[2:3]
	v_mad_co_u64_u32 v[7:8], null, s7, v13, v[4:5]
	s_delay_alu instid0(VALU_DEP_4) | instskip(NEXT) | instid1(VALU_DEP_4)
	v_mad_co_u64_u32 v[11:12], null, s4, v10, 0
	v_and_b32_e32 v8, 0xffff, v15
	v_mov_b32_e32 v2, v5
	v_mov_b32_e32 v4, v6
	v_lshl_add_u32 v19, v14, 4, 0
	s_delay_alu instid0(VALU_DEP_4) | instskip(SKIP_1) | instid1(VALU_DEP_4)
	v_lshl_add_u32 v6, v8, 4, 0
	v_mov_b32_e32 v5, v12
	v_lshlrev_b64_e32 v[15:16], 4, v[3:4]
	v_lshlrev_b64_e32 v[13:14], 4, v[1:2]
	s_delay_alu instid0(VALU_DEP_3) | instskip(SKIP_1) | instid1(VALU_DEP_3)
	v_mad_co_u64_u32 v[17:18], null, s5, v10, v[5:6]
	s_wait_alu 0xfffe
	v_add_co_u32 v15, vcc_lo, s8, v15
	s_wait_alu 0xfffd
	v_add_co_ci_u32_e32 v16, vcc_lo, s9, v16, vcc_lo
	v_mov_b32_e32 v10, v7
	s_delay_alu instid0(VALU_DEP_3) | instskip(SKIP_4) | instid1(VALU_DEP_3)
	v_add_co_u32 v13, vcc_lo, v15, v13
	v_mov_b32_e32 v12, v17
	s_wait_alu 0xfffd
	v_add_co_ci_u32_e32 v14, vcc_lo, v16, v14, vcc_lo
	v_mad_co_u64_u32 v[15:16], null, s4, v22, 0
	v_lshlrev_b64_e32 v[11:12], 4, v[11:12]
	ds_load_b128 v[1:4], v19
	ds_load_b128 v[5:8], v6
	v_and_b32_e32 v19, 0xffff, v23
	v_lshlrev_b64_e32 v[9:10], 4, v[9:10]
	v_mad_co_u64_u32 v[17:18], null, s6, v20, 0
	v_add_co_u32 v24, vcc_lo, s8, v11
	s_wait_alu 0xfffd
	v_add_co_ci_u32_e32 v12, vcc_lo, s9, v12, vcc_lo
	v_mov_b32_e32 v11, v16
	v_mul_u32_u24_e32 v16, 0x493, v19
	v_add_co_u32 v9, vcc_lo, v24, v9
	s_wait_alu 0xfffd
	v_add_co_ci_u32_e32 v10, vcc_lo, v12, v10, vcc_lo
	v_mov_b32_e32 v12, v18
	v_lshrrev_b32_e32 v24, 16, v16
	s_wait_dscnt 0x1
	global_store_b128 v[13:14], v[1:4], off
	s_wait_dscnt 0x0
	global_store_b128 v[9:10], v[5:8], off
	v_mad_co_u64_u32 v[18:19], null, s5, v22, v[11:12]
	v_mad_co_u64_u32 v[11:12], null, s7, v20, v[12:13]
	v_mul_lo_u16 v12, v24, 56
	v_or_b32_e32 v7, 0x200, v0
	v_mad_u16 v16, v20, 57, v21
	v_or_b32_e32 v20, 0x280, v0
	s_delay_alu instid0(VALU_DEP_4) | instskip(NEXT) | instid1(VALU_DEP_4)
	v_sub_nc_u16 v5, v23, v12
	v_and_b32_e32 v3, 0xffff, v7
	s_delay_alu instid0(VALU_DEP_4) | instskip(NEXT) | instid1(VALU_DEP_4)
	v_and_b32_e32 v1, 0xffff, v16
	v_dual_mov_b32 v16, v18 :: v_dual_and_b32 v23, 0xffff, v20
	s_delay_alu instid0(VALU_DEP_4) | instskip(SKIP_3) | instid1(VALU_DEP_4)
	v_and_b32_e32 v6, 0xffff, v5
	v_mov_b32_e32 v18, v11
	v_mad_co_u64_u32 v[11:12], null, s6, v24, 0
	v_mul_u32_u24_e32 v3, 0x493, v3
	v_mad_co_u64_u32 v[9:10], null, s4, v6, 0
	v_lshl_add_u32 v8, v1, 4, 0
	v_lshlrev_b64_e32 v[1:2], 4, v[15:16]
	s_delay_alu instid0(VALU_DEP_4) | instskip(SKIP_3) | instid1(VALU_DEP_4)
	v_lshrrev_b32_e32 v19, 16, v3
	v_mov_b32_e32 v4, v12
	v_mul_u32_u24_e32 v23, 0x493, v23
	v_mov_b32_e32 v3, v10
	v_mul_lo_u16 v12, v19, 56
	v_mad_u16 v10, v24, 57, v5
	v_add_co_u32 v13, vcc_lo, s8, v1
	s_delay_alu instid0(VALU_DEP_4)
	v_mad_co_u64_u32 v[5:6], null, s5, v6, v[3:4]
	s_wait_alu 0xfffd
	v_add_co_ci_u32_e32 v14, vcc_lo, s9, v2, vcc_lo
	v_lshlrev_b64_e32 v[1:2], 4, v[17:18]
	v_sub_nc_u16 v18, v7, v12
	v_mad_co_u64_u32 v[15:16], null, s6, v19, 0
	v_mad_co_u64_u32 v[3:4], null, s7, v24, v[4:5]
	v_and_b32_e32 v4, 0xffff, v10
	s_delay_alu instid0(VALU_DEP_4) | instskip(SKIP_3) | instid1(VALU_DEP_3)
	v_dual_mov_b32 v10, v5 :: v_dual_and_b32 v17, 0xffff, v18
	v_add_co_u32 v21, vcc_lo, v13, v1
	s_wait_alu 0xfffd
	v_add_co_ci_u32_e32 v22, vcc_lo, v14, v2, vcc_lo
	v_lshlrev_b64_e32 v[9:10], 4, v[9:10]
	v_mad_co_u64_u32 v[13:14], null, s4, v17, 0
	v_mov_b32_e32 v12, v3
	v_lshrrev_b32_e32 v29, 16, v23
	v_lshl_add_u32 v6, v4, 4, 0
	v_add_co_u32 v24, vcc_lo, s8, v9
	s_wait_alu 0xfffd
	v_add_co_ci_u32_e32 v25, vcc_lo, s9, v10, vcc_lo
	v_lshlrev_b64_e32 v[9:10], 4, v[11:12]
	v_dual_mov_b32 v11, v14 :: v_dual_mov_b32 v12, v16
	v_and_b32_e32 v14, 0xffff, v26
	ds_load_b128 v[1:4], v8
	ds_load_b128 v[5:8], v6
	v_add_co_u32 v23, vcc_lo, v24, v9
	v_mad_co_u64_u32 v[16:17], null, s5, v17, v[11:12]
	v_mad_co_u64_u32 v[11:12], null, s7, v19, v[12:13]
	v_mul_lo_u16 v12, v29, 56
	v_mul_u32_u24_e32 v14, 0x493, v14
	v_mad_u16 v9, v19, 57, v18
	s_wait_alu 0xfffd
	v_add_co_ci_u32_e32 v24, vcc_lo, v25, v10, vcc_lo
	v_sub_nc_u16 v12, v20, v12
	v_lshrrev_b32_e32 v33, 16, v14
	v_mov_b32_e32 v14, v16
	v_dual_mov_b32 v16, v11 :: v_dual_and_b32 v11, 0xffff, v9
	s_delay_alu instid0(VALU_DEP_4) | instskip(NEXT) | instid1(VALU_DEP_4)
	v_and_b32_e32 v30, 0xffff, v12
	v_mul_lo_u16 v19, v33, 56
	s_delay_alu instid0(VALU_DEP_4)
	v_lshlrev_b64_e32 v[9:10], 4, v[13:14]
	v_mad_u16 v12, v29, 57, v12
	v_lshl_add_u32 v13, v11, 4, 0
	v_mad_co_u64_u32 v[17:18], null, s4, v30, 0
	v_sub_nc_u16 v14, v26, v19
	v_add_co_u32 v27, vcc_lo, s8, v9
	s_wait_alu 0xfffd
	v_add_co_ci_u32_e32 v28, vcc_lo, s9, v10, vcc_lo
	v_lshlrev_b64_e32 v[9:10], 4, v[15:16]
	v_mov_b32_e32 v11, v18
	v_and_b32_e32 v15, 0xffff, v14
	v_mad_co_u64_u32 v[25:26], null, s6, v29, 0
	v_and_b32_e32 v16, 0xffff, v12
	v_add_co_u32 v27, vcc_lo, v27, v9
	s_delay_alu instid0(VALU_DEP_4)
	v_mad_co_u64_u32 v[19:20], null, s4, v15, 0
	s_wait_alu 0xfffd
	v_add_co_ci_u32_e32 v28, vcc_lo, v28, v10, vcc_lo
	v_mad_co_u64_u32 v[10:11], null, s5, v30, v[11:12]
	v_mov_b32_e32 v9, v26
	v_lshl_add_u32 v16, v16, 4, 0
	s_delay_alu instid0(VALU_DEP_2) | instskip(SKIP_4) | instid1(VALU_DEP_4)
	v_mad_co_u64_u32 v[11:12], null, s7, v29, v[9:10]
	v_mov_b32_e32 v9, v20
	v_mad_u16 v20, v33, 57, v14
	v_mad_co_u64_u32 v[29:30], null, s6, v33, 0
	v_mov_b32_e32 v18, v10
	v_mad_co_u64_u32 v[31:32], null, s5, v15, v[9:10]
	s_delay_alu instid0(VALU_DEP_4) | instskip(SKIP_1) | instid1(VALU_DEP_4)
	v_and_b32_e32 v32, 0xffff, v20
	v_mov_b32_e32 v26, v11
	v_lshlrev_b64_e32 v[17:18], 4, v[17:18]
	ds_load_b128 v[9:12], v13
	ds_load_b128 v[13:16], v16
	v_mov_b32_e32 v20, v31
	v_mad_co_u64_u32 v[30:31], null, s7, v33, v[30:31]
	v_lshl_add_u32 v33, v32, 4, 0
	v_add_co_u32 v34, vcc_lo, s8, v17
	s_delay_alu instid0(VALU_DEP_4)
	v_lshlrev_b64_e32 v[31:32], 4, v[19:20]
	s_wait_alu 0xfffd
	v_add_co_ci_u32_e32 v35, vcc_lo, s9, v18, vcc_lo
	ds_load_b128 v[17:20], v33
	v_lshlrev_b64_e32 v[25:26], 4, v[25:26]
	v_lshlrev_b64_e32 v[29:30], 4, v[29:30]
	v_add_co_u32 v31, vcc_lo, s8, v31
	s_wait_alu 0xfffd
	v_add_co_ci_u32_e32 v32, vcc_lo, s9, v32, vcc_lo
	s_delay_alu instid0(VALU_DEP_4)
	v_add_co_u32 v25, vcc_lo, v34, v25
	s_wait_alu 0xfffd
	v_add_co_ci_u32_e32 v26, vcc_lo, v35, v26, vcc_lo
	v_add_co_u32 v29, vcc_lo, v31, v29
	s_wait_alu 0xfffd
	v_add_co_ci_u32_e32 v30, vcc_lo, v32, v30, vcc_lo
	s_wait_dscnt 0x4
	global_store_b128 v[21:22], v[1:4], off
	s_wait_dscnt 0x3
	global_store_b128 v[23:24], v[5:8], off
	;; [unrolled: 2-line block ×5, first 2 shown]
.LBB0_39:
	s_wait_alu 0xfffe
	s_and_not1_b32 vcc_lo, exec_lo, s10
	s_wait_alu 0xfffe
	s_cbranch_vccnz .LBB0_43
; %bb.40:
	s_mov_b32 s8, exec_lo
	v_cmpx_gt_u32_e32 0x380, v0
	s_cbranch_execz .LBB0_43
; %bb.41:
	s_lshl_b64 s[0:1], s[0:1], 4
	s_wait_alu 0xfffe
	s_add_nc_u64 s[2:3], s[2:3], s[0:1]
	s_mov_b32 s1, 0
.LBB0_42:                               ; =>This Inner Loop Header: Depth=1
	v_lshrrev_b16 v1, 3, v0
	s_delay_alu instid0(VALU_DEP_1) | instskip(NEXT) | instid1(VALU_DEP_1)
	v_and_b32_e32 v1, 0xffff, v1
	v_mul_u32_u24_e32 v1, 0x2493, v1
	s_delay_alu instid0(VALU_DEP_1) | instskip(NEXT) | instid1(VALU_DEP_1)
	v_lshrrev_b32_e32 v4, 16, v1
	v_mul_lo_u16 v1, v4, 56
	v_mad_co_u64_u32 v[5:6], null, s6, v4, 0
	s_delay_alu instid0(VALU_DEP_2) | instskip(SKIP_1) | instid1(VALU_DEP_2)
	v_sub_nc_u16 v2, v0, v1
	v_add_nc_u32_e32 v0, 0x80, v0
	v_and_b32_e32 v3, 0xffff, v2
	v_mad_u16 v2, v4, 57, v2
	v_mov_b32_e32 v1, v6
	s_delay_alu instid0(VALU_DEP_3) | instskip(NEXT) | instid1(VALU_DEP_3)
	v_mad_co_u64_u32 v[7:8], null, s4, v3, 0
	v_and_b32_e32 v6, 0xffff, v2
	s_delay_alu instid0(VALU_DEP_1) | instskip(NEXT) | instid1(VALU_DEP_3)
	v_lshl_add_u32 v6, v6, 4, 0
	v_mov_b32_e32 v2, v8
	s_delay_alu instid0(VALU_DEP_1) | instskip(NEXT) | instid1(VALU_DEP_1)
	v_mad_co_u64_u32 v[2:3], null, s5, v3, v[2:3]
	v_mad_co_u64_u32 v[9:10], null, s7, v4, v[1:2]
	v_mov_b32_e32 v8, v2
	ds_load_b128 v[1:4], v6
	v_lshlrev_b64_e32 v[7:8], 4, v[7:8]
	v_mov_b32_e32 v6, v9
	s_wait_alu 0xfffe
	s_delay_alu instid0(VALU_DEP_2) | instskip(NEXT) | instid1(VALU_DEP_2)
	v_add_co_u32 v7, vcc_lo, s2, v7
	v_lshlrev_b64_e32 v[5:6], 4, v[5:6]
	s_wait_alu 0xfffd
	v_add_co_ci_u32_e32 v8, vcc_lo, s3, v8, vcc_lo
	v_cmp_lt_u32_e32 vcc_lo, 0x37f, v0
	s_delay_alu instid0(VALU_DEP_3) | instskip(SKIP_1) | instid1(VALU_DEP_3)
	v_add_co_u32 v5, s0, v7, v5
	s_wait_alu 0xf1ff
	v_add_co_ci_u32_e64 v6, s0, v8, v6, s0
	s_or_b32 s1, vcc_lo, s1
	s_wait_dscnt 0x0
	global_store_b128 v[5:6], v[1:4], off
	s_wait_alu 0xfffe
	s_and_not1_b32 exec_lo, exec_lo, s1
	s_cbranch_execnz .LBB0_42
.LBB0_43:
	s_nop 0
	s_sendmsg sendmsg(MSG_DEALLOC_VGPRS)
	s_endpgm
.LBB0_44:
                                        ; implicit-def: $vgpr2_vgpr3
	s_branch .LBB0_20
	.section	.rodata,"a",@progbits
	.p2align	6, 0x0
	.amdhsa_kernel fft_rtc_back_len56_factors_7_8_wgs_128_tpt_8_dp_op_CI_CI_sbcr_C2R
		.amdhsa_group_segment_fixed_size 0
		.amdhsa_private_segment_fixed_size 0
		.amdhsa_kernarg_size 104
		.amdhsa_user_sgpr_count 2
		.amdhsa_user_sgpr_dispatch_ptr 0
		.amdhsa_user_sgpr_queue_ptr 0
		.amdhsa_user_sgpr_kernarg_segment_ptr 1
		.amdhsa_user_sgpr_dispatch_id 0
		.amdhsa_user_sgpr_private_segment_size 0
		.amdhsa_wavefront_size32 1
		.amdhsa_uses_dynamic_stack 0
		.amdhsa_enable_private_segment 0
		.amdhsa_system_sgpr_workgroup_id_x 1
		.amdhsa_system_sgpr_workgroup_id_y 0
		.amdhsa_system_sgpr_workgroup_id_z 0
		.amdhsa_system_sgpr_workgroup_info 0
		.amdhsa_system_vgpr_workitem_id 0
		.amdhsa_next_free_vgpr 78
		.amdhsa_next_free_sgpr 59
		.amdhsa_reserve_vcc 1
		.amdhsa_float_round_mode_32 0
		.amdhsa_float_round_mode_16_64 0
		.amdhsa_float_denorm_mode_32 3
		.amdhsa_float_denorm_mode_16_64 3
		.amdhsa_fp16_overflow 0
		.amdhsa_workgroup_processor_mode 1
		.amdhsa_memory_ordered 1
		.amdhsa_forward_progress 0
		.amdhsa_round_robin_scheduling 0
		.amdhsa_exception_fp_ieee_invalid_op 0
		.amdhsa_exception_fp_denorm_src 0
		.amdhsa_exception_fp_ieee_div_zero 0
		.amdhsa_exception_fp_ieee_overflow 0
		.amdhsa_exception_fp_ieee_underflow 0
		.amdhsa_exception_fp_ieee_inexact 0
		.amdhsa_exception_int_div_zero 0
	.end_amdhsa_kernel
	.text
.Lfunc_end0:
	.size	fft_rtc_back_len56_factors_7_8_wgs_128_tpt_8_dp_op_CI_CI_sbcr_C2R, .Lfunc_end0-fft_rtc_back_len56_factors_7_8_wgs_128_tpt_8_dp_op_CI_CI_sbcr_C2R
                                        ; -- End function
	.section	.AMDGPU.csdata,"",@progbits
; Kernel info:
; codeLenInByte = 8144
; NumSgprs: 61
; NumVgprs: 78
; ScratchSize: 0
; MemoryBound: 0
; FloatMode: 240
; IeeeMode: 1
; LDSByteSize: 0 bytes/workgroup (compile time only)
; SGPRBlocks: 7
; VGPRBlocks: 9
; NumSGPRsForWavesPerEU: 61
; NumVGPRsForWavesPerEU: 78
; Occupancy: 16
; WaveLimiterHint : 1
; COMPUTE_PGM_RSRC2:SCRATCH_EN: 0
; COMPUTE_PGM_RSRC2:USER_SGPR: 2
; COMPUTE_PGM_RSRC2:TRAP_HANDLER: 0
; COMPUTE_PGM_RSRC2:TGID_X_EN: 1
; COMPUTE_PGM_RSRC2:TGID_Y_EN: 0
; COMPUTE_PGM_RSRC2:TGID_Z_EN: 0
; COMPUTE_PGM_RSRC2:TIDIG_COMP_CNT: 0
	.text
	.p2alignl 7, 3214868480
	.fill 96, 4, 3214868480
	.type	__hip_cuid_8f646feb7e322ff7,@object ; @__hip_cuid_8f646feb7e322ff7
	.section	.bss,"aw",@nobits
	.globl	__hip_cuid_8f646feb7e322ff7
__hip_cuid_8f646feb7e322ff7:
	.byte	0                               ; 0x0
	.size	__hip_cuid_8f646feb7e322ff7, 1

	.ident	"AMD clang version 19.0.0git (https://github.com/RadeonOpenCompute/llvm-project roc-6.4.0 25133 c7fe45cf4b819c5991fe208aaa96edf142730f1d)"
	.section	".note.GNU-stack","",@progbits
	.addrsig
	.addrsig_sym __hip_cuid_8f646feb7e322ff7
	.amdgpu_metadata
---
amdhsa.kernels:
  - .args:
      - .actual_access:  read_only
        .address_space:  global
        .offset:         0
        .size:           8
        .value_kind:     global_buffer
      - .offset:         8
        .size:           8
        .value_kind:     by_value
      - .actual_access:  read_only
        .address_space:  global
        .offset:         16
        .size:           8
        .value_kind:     global_buffer
      - .actual_access:  read_only
        .address_space:  global
        .offset:         24
        .size:           8
        .value_kind:     global_buffer
      - .actual_access:  read_only
        .address_space:  global
        .offset:         32
        .size:           8
        .value_kind:     global_buffer
      - .offset:         40
        .size:           8
        .value_kind:     by_value
      - .actual_access:  read_only
        .address_space:  global
        .offset:         48
        .size:           8
        .value_kind:     global_buffer
      - .actual_access:  read_only
        .address_space:  global
        .offset:         56
        .size:           8
        .value_kind:     global_buffer
      - .offset:         64
        .size:           4
        .value_kind:     by_value
      - .actual_access:  read_only
        .address_space:  global
        .offset:         72
        .size:           8
        .value_kind:     global_buffer
      - .actual_access:  read_only
        .address_space:  global
        .offset:         80
        .size:           8
        .value_kind:     global_buffer
      - .actual_access:  read_only
        .address_space:  global
        .offset:         88
        .size:           8
        .value_kind:     global_buffer
      - .actual_access:  write_only
        .address_space:  global
        .offset:         96
        .size:           8
        .value_kind:     global_buffer
    .group_segment_fixed_size: 0
    .kernarg_segment_align: 8
    .kernarg_segment_size: 104
    .language:       OpenCL C
    .language_version:
      - 2
      - 0
    .max_flat_workgroup_size: 128
    .name:           fft_rtc_back_len56_factors_7_8_wgs_128_tpt_8_dp_op_CI_CI_sbcr_C2R
    .private_segment_fixed_size: 0
    .sgpr_count:     61
    .sgpr_spill_count: 0
    .symbol:         fft_rtc_back_len56_factors_7_8_wgs_128_tpt_8_dp_op_CI_CI_sbcr_C2R.kd
    .uniform_work_group_size: 1
    .uses_dynamic_stack: false
    .vgpr_count:     78
    .vgpr_spill_count: 0
    .wavefront_size: 32
    .workgroup_processor_mode: 1
amdhsa.target:   amdgcn-amd-amdhsa--gfx1201
amdhsa.version:
  - 1
  - 2
...

	.end_amdgpu_metadata
